;; amdgpu-corpus repo=ROCm/rocFFT kind=compiled arch=gfx906 opt=O3
	.text
	.amdgcn_target "amdgcn-amd-amdhsa--gfx906"
	.amdhsa_code_object_version 6
	.protected	fft_rtc_fwd_len272_factors_16_17_wgs_119_tpt_17_halfLds_half_ip_CI_sbrr_dirReg ; -- Begin function fft_rtc_fwd_len272_factors_16_17_wgs_119_tpt_17_halfLds_half_ip_CI_sbrr_dirReg
	.globl	fft_rtc_fwd_len272_factors_16_17_wgs_119_tpt_17_halfLds_half_ip_CI_sbrr_dirReg
	.p2align	8
	.type	fft_rtc_fwd_len272_factors_16_17_wgs_119_tpt_17_halfLds_half_ip_CI_sbrr_dirReg,@function
fft_rtc_fwd_len272_factors_16_17_wgs_119_tpt_17_halfLds_half_ip_CI_sbrr_dirReg: ; @fft_rtc_fwd_len272_factors_16_17_wgs_119_tpt_17_halfLds_half_ip_CI_sbrr_dirReg
; %bb.0:
	s_load_dwordx2 s[14:15], s[4:5], 0x18
	s_load_dwordx4 s[8:11], s[4:5], 0x0
	s_load_dwordx2 s[12:13], s[4:5], 0x50
	v_mul_u32_u24_e32 v1, 0xf10, v0
	v_lshrrev_b32_e32 v1, 16, v1
	s_waitcnt lgkmcnt(0)
	s_load_dwordx2 s[2:3], s[14:15], 0x0
	v_mad_u64_u32 v[2:3], s[0:1], s6, 7, v[1:2]
	v_mov_b32_e32 v6, 0
	v_cmp_lt_u64_e64 s[0:1], s[10:11], 2
	v_mov_b32_e32 v3, v6
	v_mov_b32_e32 v4, 0
	;; [unrolled: 1-line block ×3, first 2 shown]
	s_and_b64 vcc, exec, s[0:1]
	v_mov_b32_e32 v5, 0
	v_mov_b32_e32 v10, v2
	s_cbranch_vccnz .LBB0_8
; %bb.1:
	s_load_dwordx2 s[0:1], s[4:5], 0x10
	s_add_u32 s6, s14, 8
	s_addc_u32 s7, s15, 0
	v_mov_b32_e32 v4, 0
	v_mov_b32_e32 v9, v3
	s_waitcnt lgkmcnt(0)
	s_add_u32 s18, s0, 8
	s_mov_b64 s[16:17], 1
	v_mov_b32_e32 v5, 0
	s_addc_u32 s19, s1, 0
	v_mov_b32_e32 v8, v2
.LBB0_2:                                ; =>This Inner Loop Header: Depth=1
	s_load_dwordx2 s[20:21], s[18:19], 0x0
                                        ; implicit-def: $vgpr10_vgpr11
	s_waitcnt lgkmcnt(0)
	v_or_b32_e32 v7, s21, v9
	v_cmp_ne_u64_e32 vcc, 0, v[6:7]
	s_and_saveexec_b64 s[0:1], vcc
	s_xor_b64 s[22:23], exec, s[0:1]
	s_cbranch_execz .LBB0_4
; %bb.3:                                ;   in Loop: Header=BB0_2 Depth=1
	v_cvt_f32_u32_e32 v1, s20
	v_cvt_f32_u32_e32 v3, s21
	s_sub_u32 s0, 0, s20
	s_subb_u32 s1, 0, s21
	v_mac_f32_e32 v1, 0x4f800000, v3
	v_rcp_f32_e32 v1, v1
	v_mul_f32_e32 v1, 0x5f7ffffc, v1
	v_mul_f32_e32 v3, 0x2f800000, v1
	v_trunc_f32_e32 v3, v3
	v_mac_f32_e32 v1, 0xcf800000, v3
	v_cvt_u32_f32_e32 v3, v3
	v_cvt_u32_f32_e32 v1, v1
	v_mul_lo_u32 v7, s0, v3
	v_mul_hi_u32 v10, s0, v1
	v_mul_lo_u32 v12, s1, v1
	v_mul_lo_u32 v11, s0, v1
	v_add_u32_e32 v7, v10, v7
	v_add_u32_e32 v7, v7, v12
	v_mul_hi_u32 v10, v1, v11
	v_mul_lo_u32 v12, v1, v7
	v_mul_hi_u32 v14, v1, v7
	v_mul_hi_u32 v13, v3, v11
	v_mul_lo_u32 v11, v3, v11
	v_mul_hi_u32 v15, v3, v7
	v_add_co_u32_e32 v10, vcc, v10, v12
	v_addc_co_u32_e32 v12, vcc, 0, v14, vcc
	v_mul_lo_u32 v7, v3, v7
	v_add_co_u32_e32 v10, vcc, v10, v11
	v_addc_co_u32_e32 v10, vcc, v12, v13, vcc
	v_addc_co_u32_e32 v11, vcc, 0, v15, vcc
	v_add_co_u32_e32 v7, vcc, v10, v7
	v_addc_co_u32_e32 v10, vcc, 0, v11, vcc
	v_add_co_u32_e32 v1, vcc, v1, v7
	v_addc_co_u32_e32 v3, vcc, v3, v10, vcc
	v_mul_lo_u32 v7, s0, v3
	v_mul_hi_u32 v10, s0, v1
	v_mul_lo_u32 v11, s1, v1
	v_mul_lo_u32 v12, s0, v1
	v_add_u32_e32 v7, v10, v7
	v_add_u32_e32 v7, v7, v11
	v_mul_lo_u32 v13, v1, v7
	v_mul_hi_u32 v14, v1, v12
	v_mul_hi_u32 v15, v1, v7
	;; [unrolled: 1-line block ×3, first 2 shown]
	v_mul_lo_u32 v12, v3, v12
	v_mul_hi_u32 v10, v3, v7
	v_add_co_u32_e32 v13, vcc, v14, v13
	v_addc_co_u32_e32 v14, vcc, 0, v15, vcc
	v_mul_lo_u32 v7, v3, v7
	v_add_co_u32_e32 v12, vcc, v13, v12
	v_addc_co_u32_e32 v11, vcc, v14, v11, vcc
	v_addc_co_u32_e32 v10, vcc, 0, v10, vcc
	v_add_co_u32_e32 v7, vcc, v11, v7
	v_addc_co_u32_e32 v10, vcc, 0, v10, vcc
	v_add_co_u32_e32 v1, vcc, v1, v7
	v_addc_co_u32_e32 v3, vcc, v3, v10, vcc
	v_mad_u64_u32 v[10:11], s[0:1], v8, v3, 0
	v_mul_hi_u32 v7, v8, v1
	v_mad_u64_u32 v[12:13], s[0:1], v9, v3, 0
	v_add_co_u32_e32 v7, vcc, v7, v10
	v_addc_co_u32_e32 v14, vcc, 0, v11, vcc
	v_mad_u64_u32 v[10:11], s[0:1], v9, v1, 0
	v_add_co_u32_e32 v1, vcc, v7, v10
	v_addc_co_u32_e32 v1, vcc, v14, v11, vcc
	v_addc_co_u32_e32 v3, vcc, 0, v13, vcc
	v_add_co_u32_e32 v1, vcc, v1, v12
	v_addc_co_u32_e32 v3, vcc, 0, v3, vcc
	v_mul_lo_u32 v7, s21, v1
	v_mul_lo_u32 v12, s20, v3
	v_mad_u64_u32 v[10:11], s[0:1], s20, v1, 0
	v_add3_u32 v7, v11, v12, v7
	v_sub_u32_e32 v11, v9, v7
	v_mov_b32_e32 v12, s21
	v_sub_co_u32_e32 v10, vcc, v8, v10
	v_subb_co_u32_e64 v11, s[0:1], v11, v12, vcc
	v_subrev_co_u32_e64 v12, s[0:1], s20, v10
	v_subbrev_co_u32_e64 v11, s[0:1], 0, v11, s[0:1]
	v_cmp_le_u32_e64 s[0:1], s21, v11
	v_cndmask_b32_e64 v13, 0, -1, s[0:1]
	v_cmp_le_u32_e64 s[0:1], s20, v12
	v_cndmask_b32_e64 v12, 0, -1, s[0:1]
	v_cmp_eq_u32_e64 s[0:1], s21, v11
	v_cndmask_b32_e64 v11, v13, v12, s[0:1]
	v_add_co_u32_e64 v12, s[0:1], 2, v1
	v_addc_co_u32_e64 v13, s[0:1], 0, v3, s[0:1]
	v_add_co_u32_e64 v14, s[0:1], 1, v1
	v_addc_co_u32_e64 v15, s[0:1], 0, v3, s[0:1]
	v_subb_co_u32_e32 v7, vcc, v9, v7, vcc
	v_cmp_ne_u32_e64 s[0:1], 0, v11
	v_cmp_le_u32_e32 vcc, s21, v7
	v_cndmask_b32_e64 v11, v15, v13, s[0:1]
	v_cndmask_b32_e64 v13, 0, -1, vcc
	v_cmp_le_u32_e32 vcc, s20, v10
	v_cndmask_b32_e64 v10, 0, -1, vcc
	v_cmp_eq_u32_e32 vcc, s21, v7
	v_cndmask_b32_e32 v7, v13, v10, vcc
	v_cmp_ne_u32_e32 vcc, 0, v7
	v_cndmask_b32_e32 v11, v3, v11, vcc
	v_cndmask_b32_e64 v3, v14, v12, s[0:1]
	v_cndmask_b32_e32 v10, v1, v3, vcc
.LBB0_4:                                ;   in Loop: Header=BB0_2 Depth=1
	s_andn2_saveexec_b64 s[0:1], s[22:23]
	s_cbranch_execz .LBB0_6
; %bb.5:                                ;   in Loop: Header=BB0_2 Depth=1
	v_cvt_f32_u32_e32 v1, s20
	s_sub_i32 s22, 0, s20
	v_mov_b32_e32 v11, v6
	v_rcp_iflag_f32_e32 v1, v1
	v_mul_f32_e32 v1, 0x4f7ffffe, v1
	v_cvt_u32_f32_e32 v1, v1
	v_mul_lo_u32 v3, s22, v1
	v_mul_hi_u32 v3, v1, v3
	v_add_u32_e32 v1, v1, v3
	v_mul_hi_u32 v1, v8, v1
	v_mul_lo_u32 v3, v1, s20
	v_add_u32_e32 v7, 1, v1
	v_sub_u32_e32 v3, v8, v3
	v_subrev_u32_e32 v10, s20, v3
	v_cmp_le_u32_e32 vcc, s20, v3
	v_cndmask_b32_e32 v3, v3, v10, vcc
	v_cndmask_b32_e32 v1, v1, v7, vcc
	v_add_u32_e32 v7, 1, v1
	v_cmp_le_u32_e32 vcc, s20, v3
	v_cndmask_b32_e32 v10, v1, v7, vcc
.LBB0_6:                                ;   in Loop: Header=BB0_2 Depth=1
	s_or_b64 exec, exec, s[0:1]
	v_mul_lo_u32 v1, v11, s20
	v_mul_lo_u32 v3, v10, s21
	v_mad_u64_u32 v[12:13], s[0:1], v10, s20, 0
	s_load_dwordx2 s[0:1], s[6:7], 0x0
	s_add_u32 s16, s16, 1
	v_add3_u32 v1, v13, v3, v1
	v_sub_co_u32_e32 v3, vcc, v8, v12
	v_subb_co_u32_e32 v1, vcc, v9, v1, vcc
	s_waitcnt lgkmcnt(0)
	v_mul_lo_u32 v1, s0, v1
	v_mul_lo_u32 v7, s1, v3
	v_mad_u64_u32 v[4:5], s[0:1], s0, v3, v[4:5]
	s_addc_u32 s17, s17, 0
	s_add_u32 s6, s6, 8
	v_add3_u32 v5, v7, v5, v1
	v_mov_b32_e32 v7, s10
	v_mov_b32_e32 v8, s11
	s_addc_u32 s7, s7, 0
	v_cmp_ge_u64_e32 vcc, s[16:17], v[7:8]
	s_add_u32 s18, s18, 8
	s_addc_u32 s19, s19, 0
	s_cbranch_vccnz .LBB0_8
; %bb.7:                                ;   in Loop: Header=BB0_2 Depth=1
	v_mov_b32_e32 v8, v10
	v_mov_b32_e32 v9, v11
	s_branch .LBB0_2
.LBB0_8:
	s_lshl_b64 s[0:1], s[10:11], 3
	s_add_u32 s0, s14, s0
	s_addc_u32 s1, s15, s1
	s_load_dwordx2 s[6:7], s[0:1], 0x0
	s_load_dwordx2 s[10:11], s[4:5], 0x20
	v_mov_b32_e32 v25, 0
	v_mov_b32_e32 v16, 0
	;; [unrolled: 1-line block ×3, first 2 shown]
	s_waitcnt lgkmcnt(0)
	v_mad_u64_u32 v[5:6], s[0:1], s6, v10, v[4:5]
	s_mov_b32 s0, 0xf0f0f10
	v_mul_lo_u32 v1, s6, v11
	v_mul_lo_u32 v3, s7, v10
	v_mul_hi_u32 v4, v0, s0
	v_cmp_gt_u64_e32 vcc, s[10:11], v[10:11]
	v_mov_b32_e32 v17, 0
	v_add3_u32 v6, v3, v6, v1
	v_mul_u32_u24_e32 v1, 17, v4
	v_sub_u32_e32 v3, v0, v1
	v_lshlrev_b64 v[0:1], 2, v[5:6]
	v_mov_b32_e32 v4, 0
	v_mov_b32_e32 v18, 0
	;; [unrolled: 1-line block ×4, first 2 shown]
                                        ; implicit-def: $vgpr11
                                        ; implicit-def: $vgpr13
                                        ; implicit-def: $vgpr20
                                        ; implicit-def: $vgpr6
                                        ; implicit-def: $vgpr26
                                        ; implicit-def: $vgpr9
                                        ; implicit-def: $vgpr19
                                        ; implicit-def: $vgpr5
                                        ; implicit-def: $vgpr28
                                        ; implicit-def: $vgpr15
                                        ; implicit-def: $vgpr24
                                        ; implicit-def: $vgpr8
                                        ; implicit-def: $vgpr27
                                        ; implicit-def: $vgpr12
                                        ; implicit-def: $vgpr23
                                        ; implicit-def: $vgpr7
	s_and_saveexec_b64 s[4:5], vcc
	s_cbranch_execz .LBB0_10
; %bb.9:
	v_mad_u64_u32 v[4:5], s[0:1], s2, v3, 0
	v_add_u32_e32 v9, 17, v3
	v_mov_b32_e32 v8, s13
	v_mad_u64_u32 v[5:6], s[0:1], s3, v3, v[5:6]
	v_mad_u64_u32 v[6:7], s[0:1], s2, v9, 0
	v_add_co_u32_e64 v12, s[0:1], s12, v0
	v_addc_co_u32_e64 v13, s[0:1], v8, v1, s[0:1]
	v_mad_u64_u32 v[7:8], s[0:1], s3, v9, v[7:8]
	v_add_u32_e32 v10, 34, v3
	v_mad_u64_u32 v[8:9], s[0:1], s2, v10, 0
	v_lshlrev_b64 v[4:5], 2, v[4:5]
	v_add_co_u32_e64 v19, s[0:1], v12, v4
	v_addc_co_u32_e64 v20, s[0:1], v13, v5, s[0:1]
	v_lshlrev_b64 v[4:5], 2, v[6:7]
	v_mov_b32_e32 v6, v9
	v_mad_u64_u32 v[6:7], s[0:1], s3, v10, v[6:7]
	v_add_u32_e32 v7, 51, v3
	v_mad_u64_u32 v[10:11], s[0:1], s2, v7, 0
	v_add_co_u32_e64 v22, s[0:1], v12, v4
	v_mov_b32_e32 v9, v6
	v_mov_b32_e32 v6, v11
	v_addc_co_u32_e64 v23, s[0:1], v13, v5, s[0:1]
	v_lshlrev_b64 v[4:5], 2, v[8:9]
	v_mad_u64_u32 v[6:7], s[0:1], s3, v7, v[6:7]
	v_add_u32_e32 v9, 0x44, v3
	v_mad_u64_u32 v[7:8], s[0:1], s2, v9, 0
	v_add_co_u32_e64 v26, s[0:1], v12, v4
	v_mov_b32_e32 v11, v6
	v_mov_b32_e32 v6, v8
	v_addc_co_u32_e64 v27, s[0:1], v13, v5, s[0:1]
	v_lshlrev_b64 v[4:5], 2, v[10:11]
	v_mad_u64_u32 v[8:9], s[0:1], s3, v9, v[6:7]
	v_add_u32_e32 v11, 0x55, v3
	v_mad_u64_u32 v[9:10], s[0:1], s2, v11, 0
	v_add_co_u32_e64 v28, s[0:1], v12, v4
	v_mov_b32_e32 v6, v10
	v_addc_co_u32_e64 v29, s[0:1], v13, v5, s[0:1]
	v_lshlrev_b64 v[4:5], 2, v[7:8]
	v_mad_u64_u32 v[6:7], s[0:1], s3, v11, v[6:7]
	v_add_u32_e32 v11, 0x66, v3
	v_mad_u64_u32 v[7:8], s[0:1], s2, v11, 0
	v_add_co_u32_e64 v30, s[0:1], v12, v4
	v_mov_b32_e32 v10, v6
	v_mov_b32_e32 v6, v8
	v_addc_co_u32_e64 v31, s[0:1], v13, v5, s[0:1]
	v_lshlrev_b64 v[4:5], 2, v[9:10]
	v_mad_u64_u32 v[8:9], s[0:1], s3, v11, v[6:7]
	v_add_u32_e32 v11, 0x77, v3
	v_mad_u64_u32 v[9:10], s[0:1], s2, v11, 0
	v_add_co_u32_e64 v32, s[0:1], v12, v4
	;; [unrolled: 15-line block ×6, first 2 shown]
	v_mov_b32_e32 v6, v10
	v_addc_co_u32_e64 v49, s[0:1], v13, v5, s[0:1]
	v_lshlrev_b64 v[4:5], 2, v[7:8]
	v_mad_u64_u32 v[6:7], s[0:1], s3, v11, v[6:7]
	v_add_co_u32_e64 v50, s[0:1], v12, v4
	v_mov_b32_e32 v10, v6
	v_addc_co_u32_e64 v51, s[0:1], v13, v5, s[0:1]
	v_lshlrev_b64 v[4:5], 2, v[9:10]
	v_add_co_u32_e64 v52, s[0:1], v12, v4
	v_addc_co_u32_e64 v53, s[0:1], v13, v5, s[0:1]
	global_load_dword v13, v[38:39], off
	global_load_dword v6, v[40:41], off
	;; [unrolled: 1-line block ×15, first 2 shown]
                                        ; kill: killed $vgpr19 killed $vgpr20
                                        ; kill: killed $vgpr34 killed $vgpr35
                                        ; kill: killed $vgpr22 killed $vgpr23
                                        ; kill: killed $vgpr26 killed $vgpr27
                                        ; kill: killed $vgpr38 killed $vgpr39
                                        ; kill: killed $vgpr28 killed $vgpr29
                                        ; kill: killed $vgpr30 killed $vgpr31
                                        ; kill: killed $vgpr32 killed $vgpr33
                                        ; kill: killed $vgpr40 killed $vgpr41
                                        ; kill: killed $vgpr42 killed $vgpr43
                                        ; kill: killed $vgpr44 killed $vgpr45
                                        ; kill: killed $vgpr46 killed $vgpr47
                                        ; kill: killed $vgpr48 killed $vgpr49
                                        ; kill: killed $vgpr50 killed $vgpr51
                                        ; kill: killed $vgpr52 killed $vgpr53
	global_load_dword v22, v[36:37], off
	s_waitcnt vmcnt(15)
	v_lshrrev_b32_e32 v11, 16, v13
	s_waitcnt vmcnt(14)
	v_lshrrev_b32_e32 v20, 16, v6
	;; [unrolled: 2-line block ×8, first 2 shown]
.LBB0_10:
	s_or_b64 exec, exec, s[4:5]
	s_mov_b32 s0, 0x24924925
	v_mul_hi_u32 v29, v2, s0
	s_waitcnt vmcnt(7)
	v_sub_f16_e32 v30, v4, v13
	s_waitcnt vmcnt(3)
	v_sub_f16_e32 v13, v25, v15
	v_sub_f16_e32 v6, v17, v6
	v_sub_u32_e32 v15, v2, v29
	v_lshrrev_b32_e32 v15, 1, v15
	v_add_u32_e32 v15, v15, v29
	v_lshrrev_b32_e32 v15, 2, v15
	v_mul_lo_u32 v29, v15, 7
	v_fma_f16 v32, v17, 2.0, -v6
	v_lshrrev_b32_e32 v14, 16, v25
	v_sub_f16_e32 v9, v16, v9
	v_sub_u32_e32 v2, v2, v29
	v_lshrrev_b32_e32 v29, 16, v17
	s_waitcnt vmcnt(2)
	v_lshrrev_b32_e32 v17, 16, v18
	v_sub_f16_e32 v24, v17, v24
	v_mul_u32_u24_e32 v40, 0x110, v2
	v_lshrrev_b32_e32 v2, 16, v16
	v_fma_f16 v33, v17, 2.0, -v24
	v_lshrrev_b32_e32 v17, 16, v10
	v_sub_f16_e32 v26, v2, v26
	v_sub_f16_e32 v19, v17, v19
	;; [unrolled: 1-line block ×3, first 2 shown]
	v_fma_f16 v28, v16, 2.0, -v9
	v_fma_f16 v16, v2, 2.0, -v26
	s_waitcnt vmcnt(1)
	v_lshrrev_b32_e32 v2, 16, v21
	v_sub_f16_e32 v12, v21, v12
	v_fma_f16 v34, v17, 2.0, -v19
	s_waitcnt vmcnt(0)
	v_lshrrev_b32_e32 v17, 16, v22
	v_fma_f16 v31, v4, 2.0, -v30
	v_fma_f16 v25, v25, 2.0, -v13
	v_sub_f16_e32 v27, v2, v27
	v_fma_f16 v21, v21, 2.0, -v12
	v_sub_f16_e32 v20, v29, v20
	v_sub_f16_e32 v8, v18, v8
	;; [unrolled: 1-line block ×5, first 2 shown]
	v_fma_f16 v2, v2, 2.0, -v27
	v_fma_f16 v29, v29, 2.0, -v20
	;; [unrolled: 1-line block ×6, first 2 shown]
	v_sub_f16_e32 v25, v31, v25
	v_sub_f16_e32 v36, v30, v15
	;; [unrolled: 1-line block ×4, first 2 shown]
	v_fma_f16 v31, v31, 2.0, -v25
	v_fma_f16 v30, v30, 2.0, -v36
	v_sub_f16_e32 v21, v16, v2
	v_fma_f16 v2, v28, 2.0, -v17
	v_add_f16_e32 v42, v26, v12
	v_fma_f16 v43, v9, 2.0, -v41
	v_sub_f16_e32 v9, v32, v18
	v_sub_f16_e32 v12, v29, v33
	v_sub_f16_e32 v22, v10, v22
	s_mov_b32 s1, 0xb9a8
	v_fma_f16 v44, v26, 2.0, -v42
	v_fma_f16 v26, v32, 2.0, -v9
	;; [unrolled: 1-line block ×3, first 2 shown]
	v_sub_f16_e32 v24, v6, v24
	v_add_f16_e32 v8, v20, v8
	v_sub_f16_e32 v27, v34, v35
	v_fma_f16 v10, v10, 2.0, -v22
	v_sub_f16_e32 v23, v5, v23
	v_add_f16_e32 v7, v19, v7
	v_sub_f16_e32 v45, v31, v2
	s_movk_i32 s0, 0x39a8
	v_fma_f16 v29, v43, s1, v30
	v_fma_f16 v6, v6, 2.0, -v24
	v_fma_f16 v20, v20, 2.0, -v8
	;; [unrolled: 1-line block ×6, first 2 shown]
	v_fma_f16 v46, v44, s1, v29
	v_fma_f16 v29, v41, s0, v36
	v_sub_f16_e32 v31, v26, v10
	v_fma_f16 v48, v42, s1, v29
	v_sub_f16_e32 v29, v18, v28
	v_fma_f16 v10, v26, 2.0, -v31
	v_fma_f16 v26, v5, s1, v6
	v_fma_f16 v28, v19, s1, v20
	;; [unrolled: 1-line block ×5, first 2 shown]
	v_fma_f16 v39, v30, 2.0, -v46
	v_sub_f16_e32 v47, v25, v21
	v_fma_f16 v30, v6, 2.0, -v32
	v_sub_f16_e32 v51, v9, v27
	v_fma_f16 v6, v7, s0, v8
	v_fma_f16 v35, v7, s1, v5
	v_fma_f16 v25, v25, 2.0, -v47
	v_fma_f16 v49, v36, 2.0, -v48
	v_add_f16_e32 v52, v12, v22
	v_fma_f16 v53, v9, 2.0, -v51
	v_fma_f16 v36, v23, s0, v6
	v_fma_f16 v37, v24, 2.0, -v35
	s_mov_b32 s7, 0xbb64
	s_mov_b32 s6, 0xb61f
	v_fma_f16 v34, v20, 2.0, -v33
	v_fma_f16 v54, v12, 2.0, -v52
	;; [unrolled: 1-line block ×3, first 2 shown]
	v_fma_f16 v6, v30, s7, v39
	v_fma_f16 v7, v53, s1, v25
	;; [unrolled: 1-line block ×3, first 2 shown]
	v_sub_f16_e32 v5, v2, v10
	v_fma_f16 v6, v34, s6, v6
	v_fma_f16 v7, v54, s1, v7
	;; [unrolled: 1-line block ×3, first 2 shown]
	v_fma_f16 v2, v2, 2.0, -v5
	v_fma_f16 v10, v39, 2.0, -v6
	;; [unrolled: 1-line block ×4, first 2 shown]
	v_lshl_add_u32 v50, v3, 5, 0
	v_lshl_add_u32 v39, v40, 1, v50
	v_pack_b32_f16 v9, v19, v20
	v_pack_b32_f16 v12, v2, v10
	s_movk_i32 s10, 0x361f
	ds_write2_b32 v39, v12, v9 offset1:1
	v_fma_f16 v9, v32, s10, v46
	v_fma_f16 v27, v33, s7, v9
	;; [unrolled: 1-line block ×3, first 2 shown]
	s_movk_i32 s11, 0x3b64
	v_fma_f16 v26, v52, s1, v9
	v_fma_f16 v9, v35, s11, v48
	v_sub_f16_e32 v25, v45, v29
	v_fma_f16 v24, v36, s6, v9
	v_fma_f16 v22, v45, 2.0, -v25
	v_fma_f16 v28, v46, 2.0, -v27
	;; [unrolled: 1-line block ×4, first 2 shown]
	v_pack_b32_f16 v23, v12, v9
	v_pack_b32_f16 v45, v22, v28
	ds_write2_b32 v39, v45, v23 offset0:2 offset1:3
	v_pack_b32_f16 v23, v7, v8
	v_pack_b32_f16 v45, v5, v6
	ds_write2_b32 v39, v45, v23 offset0:4 offset1:5
	;; [unrolled: 3-line block ×3, first 2 shown]
	v_mul_f16_e32 v48, 0x39a8, v43
	v_mul_f16_e32 v49, 0x39a8, v44
	;; [unrolled: 1-line block ×8, first 2 shown]
	v_cmp_gt_u32_e64 s[0:1], 16, v3
	v_lshlrev_b32_e32 v40, 1, v40
	v_lshlrev_b32_e32 v41, 1, v3
	s_waitcnt lgkmcnt(0)
	s_barrier
	s_waitcnt lgkmcnt(0)
                                        ; implicit-def: $vgpr23
	s_and_saveexec_b64 s[4:5], s[0:1]
	s_cbranch_execz .LBB0_12
; %bb.11:
	v_mul_i32_i24_e32 v5, 0xffffffe2, v3
	v_add3_u32 v2, 0, v40, v41
	v_add3_u32 v23, v50, v5, v40
	ds_read_u16 v2, v2
	ds_read_u16 v10, v23 offset:32
	ds_read_u16 v19, v23 offset:64
	;; [unrolled: 1-line block ×16, first 2 shown]
.LBB0_12:
	s_or_b64 exec, exec, s[4:5]
	v_lshrrev_b32_e32 v4, 16, v4
	v_sub_f16_e32 v11, v4, v11
	v_fma_f16 v4, v4, 2.0, -v11
	v_fma_f16 v14, v14, 2.0, -v15
	v_sub_f16_e32 v14, v4, v14
	v_add_f16_e32 v13, v11, v13
	v_fma_f16 v4, v4, 2.0, -v14
	v_fma_f16 v11, v11, 2.0, -v13
	;; [unrolled: 1-line block ×3, first 2 shown]
	v_sub_f16_e32 v16, v4, v15
	v_sub_f16_e32 v15, v11, v49
	v_add_f16_e32 v48, v48, v15
	v_fma_f16 v15, v11, 2.0, -v48
	v_add_f16_e32 v11, v13, v47
	v_add_f16_e32 v46, v46, v11
	;; [unrolled: 1-line block ×3, first 2 shown]
	v_fma_f16 v17, v13, 2.0, -v46
	v_fma_f16 v13, v34, s7, v15
	v_fma_f16 v14, v14, 2.0, -v49
	v_fma_f16 v21, v30, s10, v13
	v_fma_f16 v13, v15, 2.0, -v21
	v_sub_f16_e32 v15, v14, v45
	v_fma_f16 v11, v18, 2.0, -v29
	v_add_f16_e32 v29, v44, v15
	v_fma_f16 v15, v38, s6, v17
	v_fma_f16 v30, v37, s11, v15
	v_add_f16_e32 v31, v16, v31
	v_fma_f16 v4, v4, 2.0, -v16
	v_fma_f16 v15, v17, 2.0, -v30
	;; [unrolled: 1-line block ×3, first 2 shown]
	v_fma_f16 v16, v33, s10, v48
	v_sub_f16_e32 v11, v4, v11
	v_fma_f16 v33, v32, s11, v16
	v_add_f16_e32 v18, v49, v43
	v_fma_f16 v32, v36, s11, v46
	v_fma_f16 v4, v4, 2.0, -v11
	v_fma_f16 v14, v14, 2.0, -v29
	v_add_f16_e32 v34, v42, v18
	v_fma_f16 v35, v35, s10, v32
	v_fma_f16 v16, v48, 2.0, -v33
	v_fma_f16 v18, v49, 2.0, -v34
	;; [unrolled: 1-line block ×3, first 2 shown]
	v_pack_b32_f16 v36, v14, v15
	v_pack_b32_f16 v37, v4, v13
	s_waitcnt lgkmcnt(0)
	s_barrier
	ds_write2_b32 v39, v37, v36 offset1:1
	v_pack_b32_f16 v36, v18, v32
	v_pack_b32_f16 v37, v17, v16
	ds_write2_b32 v39, v37, v36 offset0:2 offset1:3
	v_pack_b32_f16 v36, v29, v30
	v_pack_b32_f16 v37, v11, v21
	ds_write2_b32 v39, v37, v36 offset0:4 offset1:5
	;; [unrolled: 3-line block ×3, first 2 shown]
	s_waitcnt lgkmcnt(0)
	s_barrier
	s_waitcnt lgkmcnt(0)
                                        ; implicit-def: $vgpr36
	s_and_saveexec_b64 s[4:5], s[0:1]
	s_cbranch_execnz .LBB0_15
; %bb.13:
	s_or_b64 exec, exec, s[4:5]
	s_and_b64 s[0:1], vcc, s[0:1]
	s_and_saveexec_b64 s[4:5], s[0:1]
	s_cbranch_execnz .LBB0_16
.LBB0_14:
	s_endpgm
.LBB0_15:
	v_add3_u32 v4, 0, v40, v41
	v_add3_u32 v36, 0, v41, v40
	ds_read_u16 v4, v4
	ds_read_u16 v13, v36 offset:32
	ds_read_u16 v14, v36 offset:64
	;; [unrolled: 1-line block ×16, first 2 shown]
	s_or_b64 exec, exec, s[4:5]
	s_and_b64 s[0:1], vcc, s[0:1]
	s_and_saveexec_b64 s[4:5], s[0:1]
	s_cbranch_execz .LBB0_14
.LBB0_16:
	v_lshlrev_b32_e32 v37, 4, v3
	v_mov_b32_e32 v38, 0
	v_lshlrev_b64 v[37:38], 2, v[37:38]
	v_mov_b32_e32 v39, s9
	v_add_co_u32_e32 v53, vcc, s8, v37
	v_addc_co_u32_e32 v54, vcc, v39, v38, vcc
	global_load_dwordx4 v[37:40], v[53:54], off
	global_load_dwordx4 v[41:44], v[53:54], off offset:48
	global_load_dwordx4 v[45:48], v[53:54], off offset:16
	;; [unrolled: 1-line block ×3, first 2 shown]
	s_movk_i32 s6, 0x3964
	s_movk_i32 s18, 0x3bf7
	;; [unrolled: 1-line block ×4, first 2 shown]
	s_mov_b32 s11, 0xb836
	s_mov_b32 s24, 0xbbb2
	;; [unrolled: 1-line block ×4, first 2 shown]
	s_movk_i32 s4, 0x39e9
	s_movk_i32 s0, 0x2de8
	s_mov_b32 s1, 0xb8d2
	s_mov_b32 s5, 0xbbdd
	;; [unrolled: 1-line block ×4, first 2 shown]
	s_movk_i32 s9, 0x3722
	s_movk_i32 s10, 0x3b76
	;; [unrolled: 1-line block ×3, first 2 shown]
	s_mov_b32 s20, 0xb1e1
	s_mov_b32 s22, 0xb964
	s_movk_i32 s21, 0x35c8
	s_movk_i32 s23, 0x3836
	s_mov_b32 s25, 0xba62
	s_movk_i32 s26, 0x3bb2
	s_mov_b32 s27, 0xbbf7
	s_waitcnt vmcnt(3)
	v_lshrrev_b32_e32 v53, 16, v37
	v_lshrrev_b32_e32 v55, 16, v39
	s_waitcnt lgkmcnt(14)
	v_mul_f16_e32 v57, v13, v37
	s_waitcnt vmcnt(2)
	v_lshrrev_b32_e32 v62, 16, v44
	s_waitcnt lgkmcnt(0)
	v_mul_f16_e32 v63, v36, v44
	s_waitcnt vmcnt(1)
	v_lshrrev_b32_e32 v69, 16, v45
	v_lshrrev_b32_e32 v78, 16, v48
	;; [unrolled: 1-line block ×4, first 2 shown]
	v_mul_f16_e32 v58, v14, v38
	v_mul_f16_e32 v59, v15, v39
	v_lshrrev_b32_e32 v61, 16, v43
	v_mul_f16_e32 v64, v35, v43
	v_mul_f16_e32 v70, v16, v45
	v_lshrrev_b32_e32 v71, 16, v46
	v_mul_f16_e32 v79, v11, v48
	s_waitcnt vmcnt(0)
	v_lshrrev_b32_e32 v83, 16, v50
	v_lshrrev_b32_e32 v76, 16, v52
	v_mul_f16_e32 v72, v13, v53
	v_mul_f16_e32 v87, v15, v55
	;; [unrolled: 1-line block ×5, first 2 shown]
	v_fma_f16 v11, v23, v62, v63
	v_fma_f16 v16, v10, v53, v57
	v_mul_f16_e32 v60, v17, v40
	v_lshrrev_b32_e32 v65, 16, v42
	v_mul_f16_e32 v66, v34, v42
	v_lshrrev_b32_e32 v67, 16, v41
	v_mul_f16_e32 v73, v18, v46
	v_lshrrev_b32_e32 v75, 16, v47
	v_lshrrev_b32_e32 v81, 16, v49
	v_lshrrev_b32_e32 v80, 16, v51
	v_mul_f16_e32 v82, v31, v52
	v_mul_f16_e32 v85, v29, v50
	;; [unrolled: 1-line block ×6, first 2 shown]
	v_fma_f16 v13, v24, v61, v64
	v_fma_f16 v17, v19, v54, v58
	v_fma_f16 v18, v20, v55, v59
	v_mul_f16_e32 v53, v31, v76
	v_mul_f16_e32 v55, v29, v83
	v_fma_f16 v29, v10, v37, -v72
	v_fma_f16 v31, v20, v39, -v87
	;; [unrolled: 1-line block ×3, first 2 shown]
	v_add_f16_e32 v20, v11, v16
	v_mul_f16_e32 v68, v33, v41
	v_mul_f16_e32 v77, v32, v47
	v_mul_f16_e32 v84, v30, v51
	v_mul_f16_e32 v86, v21, v49
	v_mul_f16_e32 v34, v34, v65
	v_mul_f16_e32 v33, v33, v67
	v_mul_f16_e32 v91, v32, v75
	v_fma_f16 v14, v26, v65, v66
	v_mul_f16_e32 v54, v30, v80
	v_mul_f16_e32 v57, v21, v81
	v_fma_f16 v21, v22, v56, v60
	v_fma_f16 v30, v19, v38, -v74
	v_fma_f16 v32, v22, v40, -v88
	;; [unrolled: 1-line block ×3, first 2 shown]
	v_add_f16_e32 v22, v13, v17
	v_mul_f16_e32 v72, 0x39e9, v20
	v_sub_f16_e32 v63, v29, v23
	v_fma_f16 v15, v27, v67, v68
	v_fma_f16 v26, v26, v42, -v34
	v_fma_f16 v27, v27, v41, -v33
	;; [unrolled: 1-line block ×3, first 2 shown]
	v_fma_f16 v10, v63, s6, v72
	v_mul_f16_e32 v74, 0x2de8, v22
	v_sub_f16_e32 v64, v30, v24
	v_fma_f16 v33, v25, v76, v82
	v_add_f16_e32 v25, v14, v18
	v_fma_f16 v36, v28, v45, -v89
	v_add_f16_e32 v10, v4, v10
	v_fma_f16 v19, v64, s18, v74
	v_mul_f16_e32 v76, 0xb8d2, v25
	v_fma_f16 v44, v28, v69, v70
	v_sub_f16_e32 v65, v31, v26
	v_add_f16_e32 v28, v15, v21
	v_fma_f16 v41, v7, v50, -v55
	v_add_f16_e32 v10, v10, v19
	v_fma_f16 v19, v65, s15, v76
	v_fma_f16 v45, v8, v80, v84
	v_mul_f16_e32 v80, 0xbbdd, v28
	v_sub_f16_e32 v66, v32, v27
	v_fma_f16 v50, v12, v71, v73
	v_add_f16_e32 v35, v33, v44
	v_fma_f16 v37, v12, v46, -v90
	v_fma_f16 v38, v8, v51, -v54
	;; [unrolled: 1-line block ×3, first 2 shown]
	v_add_f16_e32 v10, v10, v19
	v_fma_f16 v8, v66, s14, v80
	v_mul_f16_e32 v82, 0xbacd, v35
	v_fma_f16 v49, v7, v83, v85
	v_sub_f16_e32 v68, v36, v34
	v_add_f16_e32 v42, v45, v50
	v_fma_f16 v52, v9, v75, v77
	v_fma_f16 v39, v9, v47, -v91
	v_add_f16_e32 v8, v10, v8
	v_fma_f16 v7, v68, s11, v82
	v_mul_f16_e32 v84, 0xb461, v42
	v_sub_f16_e32 v69, v37, v38
	v_fma_f16 v54, v6, v81, v86
	v_add_f16_e32 v47, v49, v52
	v_fma_f16 v57, v5, v78, v79
	v_fma_f16 v40, v5, v48, -v92
	v_add_f16_e32 v7, v8, v7
	v_fma_f16 v8, v69, s24, v84
	v_mul_f16_e32 v87, 0x3722, v47
	v_sub_f16_e32 v70, v39, v41
	v_add_f16_e32 v48, v54, v57
	v_add_f16_e32 v7, v7, v8
	v_fma_f16 v5, v70, s17, v87
	v_mul_f16_e32 v88, 0x3b76, v48
	v_sub_f16_e32 v71, v40, v43
	v_sub_f16_e32 v73, v16, v11
	v_add_f16_e32 v5, v7, v5
	v_fma_f16 v6, v71, s16, v88
	v_add_f16_e32 v51, v23, v29
	v_mul_f16_e32 v89, 0xb964, v73
	v_sub_f16_e32 v75, v17, v13
	v_add_f16_e32 v5, v5, v6
	v_fma_f16 v6, v51, s4, v89
	v_add_f16_e32 v53, v24, v30
	v_mul_f16_e32 v91, 0xbbf7, v75
	;; [unrolled: 5-line block ×8, first 2 shown]
	v_add_f16_e32 v6, v6, v7
	v_fma_f16 v7, v62, s10, v98
	v_mul_f16_e32 v99, 0x3722, v20
	v_add_f16_e32 v6, v6, v7
	v_fma_f16 v7, v63, s19, v99
	v_mul_f16_e32 v100, 0xb8d2, v22
	v_add_f16_e32 v7, v4, v7
	v_fma_f16 v8, v64, s15, v100
	v_mul_f16_e32 v101, 0xbbdd, v25
	v_add_f16_e32 v7, v7, v8
	v_fma_f16 v8, v65, s20, v101
	v_mul_f16_e32 v102, 0xb461, v28
	v_add_f16_e32 v7, v7, v8
	v_fma_f16 v8, v66, s24, v102
	v_mul_f16_e32 v103, 0x39e9, v35
	v_add_f16_e32 v7, v7, v8
	v_fma_f16 v8, v68, s22, v103
	v_mul_f16_e32 v104, 0x3b76, v42
	v_add_f16_e32 v7, v7, v8
	v_fma_f16 v8, v69, s21, v104
	v_mul_f16_e32 v105, 0x2de8, v47
	v_add_f16_e32 v7, v7, v8
	v_fma_f16 v8, v70, s18, v105
	v_mul_f16_e32 v106, 0xbacd, v48
	v_add_f16_e32 v7, v7, v8
	v_fma_f16 v8, v71, s23, v106
	v_mul_f16_e32 v107, 0xbb29, v73
	v_add_f16_e32 v7, v7, v8
	v_fma_f16 v8, v51, s9, v107
	v_mul_f16_e32 v108, 0xba62, v75
	v_add_f16_e32 v8, v2, v8
	v_fma_f16 v9, v53, s1, v108
	v_mul_f16_e32 v109, 0x31e1, v78
	v_add_f16_e32 v8, v8, v9
	v_fma_f16 v9, v55, s5, v109
	v_mul_f16_e32 v110, 0x3bb2, v79
	v_add_f16_e32 v8, v8, v9
	v_fma_f16 v9, v58, s8, v110
	v_mul_f16_e32 v111, 0x3964, v81
	v_add_f16_e32 v8, v8, v9
	v_fma_f16 v9, v60, s4, v111
	v_mul_f16_e32 v112, 0xb5c8, v83
	v_add_f16_e32 v8, v8, v9
	v_fma_f16 v9, v59, s10, v112
	v_mul_f16_e32 v113, 0xbbf7, v85
	v_add_f16_e32 v8, v8, v9
	v_fma_f16 v9, v61, s0, v113
	v_mul_f16_e32 v114, 0xb836, v86
	v_add_f16_e32 v8, v8, v9
	v_fma_f16 v9, v62, s7, v114
	v_mul_f16_e32 v115, 0x2de8, v20
	v_add_f16_e32 v8, v8, v9
	v_fma_f16 v9, v63, s18, v115
	v_mul_f16_e32 v116, 0xbbdd, v22
	v_add_f16_e32 v9, v4, v9
	v_fma_f16 v10, v64, s14, v116
	v_mul_f16_e32 v117, 0xb461, v25
	v_add_f16_e32 v9, v9, v10
	v_fma_f16 v10, v65, s24, v117
	v_mul_f16_e32 v118, 0x3b76, v28
	v_add_f16_e32 v9, v9, v10
	v_fma_f16 v10, v66, s16, v118
	v_mul_f16_e32 v119, 0x3722, v35
	v_add_f16_e32 v9, v9, v10
	v_fma_f16 v10, v68, s19, v119
	v_mul_f16_e32 v120, 0xbacd, v42
	v_add_f16_e32 v9, v9, v10
	v_fma_f16 v10, v69, s23, v120
	v_mul_f16_e32 v121, 0xb8d2, v47
	v_add_f16_e32 v9, v9, v10
	v_fma_f16 v10, v70, s25, v121
	v_mul_f16_e32 v122, 0x39e9, v48
	v_add_f16_e32 v9, v9, v10
	v_fma_f16 v10, v71, s22, v122
	v_mul_f16_e32 v123, 0xbbf7, v73
	v_add_f16_e32 v9, v9, v10
	v_fma_f16 v10, v51, s0, v123
	v_mul_f16_e32 v124, 0xb1e1, v75
	v_add_f16_e32 v10, v2, v10
	v_fma_f16 v12, v53, s5, v124
	v_mul_f16_e32 v125, 0x3bb2, v78
	v_add_f16_e32 v10, v10, v12
	v_fma_f16 v12, v55, s8, v125
	v_mul_f16_e32 v126, 0x35c8, v79
	v_add_f16_e32 v10, v10, v12
	v_fma_f16 v12, v58, s10, v126
	v_mul_f16_e32 v127, 0xbb29, v81
	v_add_f16_e32 v10, v10, v12
	v_fma_f16 v12, v60, s9, v127
	v_mul_f16_e32 v128, 0xb836, v83
	v_add_f16_e32 v10, v10, v12
	v_fma_f16 v12, v59, s7, v128
	v_mul_f16_e32 v129, 0x3a62, v85
	v_add_f16_e32 v10, v10, v12
	v_fma_f16 v12, v61, s1, v129
	v_mul_f16_e32 v130, 0x3964, v86
	v_add_f16_e32 v10, v10, v12
	v_fma_f16 v12, v62, s4, v130
	v_mul_f16_e32 v131, 0xb461, v20
	v_add_f16_e32 v10, v10, v12
	v_fma_f16 v12, v63, s26, v131
	v_mul_f16_e32 v132, 0xbacd, v22
	v_add_f16_e32 v12, v4, v12
	v_fma_f16 v19, v64, s11, v132
	v_mul_f16_e32 v133, 0x39e9, v25
	v_add_f16_e32 v12, v12, v19
	v_fma_f16 v19, v65, s22, v133
	v_mul_f16_e32 v134, 0x3722, v28
	v_add_f16_e32 v12, v12, v19
	v_fma_f16 v19, v66, s19, v134
	v_mul_f16_e32 v135, 0xbbdd, v35
	v_add_f16_e32 v12, v12, v19
	v_fma_f16 v19, v68, s14, v135
	v_mul_f16_e32 v136, 0x2de8, v42
	v_add_f16_e32 v12, v12, v19
	v_fma_f16 v19, v69, s27, v136
	v_mul_f16_e32 v137, 0x3b76, v47
	v_add_f16_e32 v12, v12, v19
	v_fma_f16 v19, v70, s21, v137
	v_mul_f16_e32 v138, 0xb8d2, v48
	v_add_f16_e32 v12, v12, v19
	v_fma_f16 v19, v71, s15, v138
	v_mul_f16_e32 v139, 0xbbb2, v73
	v_add_f16_e32 v12, v12, v19
	v_fma_f16 v19, v51, s8, v139
	v_mul_f16_e32 v140, 0x3836, v75
	v_add_f16_e32 v19, v2, v19
	v_fma_f16 v46, v53, s7, v140
	v_mul_f16_e32 v141, 0x3964, v78
	v_add_f16_e32 v19, v19, v46
	v_fma_f16 v46, v55, s4, v141
	v_mul_f16_e32 v142, 0xbb29, v79
	v_add_f16_e32 v19, v19, v46
	v_fma_f16 v46, v58, s9, v142
	v_mul_f16_e32 v143, 0xb1e1, v81
	v_add_f16_e32 v19, v19, v46
	v_fma_f16 v46, v60, s5, v143
	v_mul_f16_e32 v144, 0x3bf7, v83
	v_add_f16_e32 v19, v19, v46
	v_fma_f16 v46, v59, s0, v144
	v_mul_f16_e32 v145, 0xb5c8, v85
	v_add_f16_e32 v19, v19, v46
	v_fma_f16 v46, v61, s10, v145
	v_mul_f16_e32 v146, 0xba62, v86
	v_add_f16_e32 v19, v19, v46
	v_fma_f16 v46, v62, s1, v146
	v_mul_f16_e32 v147, 0xb8d2, v20
	v_add_f16_e32 v19, v19, v46
	v_fma_f16 v46, v63, s15, v147
	v_mul_f16_e32 v148, 0xb461, v22
	v_add_f16_e32 v46, v4, v46
	v_fma_f16 v56, v64, s24, v148
	v_mul_f16_e32 v149, 0x3b76, v25
	v_add_f16_e32 v46, v46, v56
	v_fma_f16 v56, v65, s21, v149
	v_mul_f16_e32 v150, 0xbacd, v28
	v_add_f16_e32 v46, v46, v56
	v_fma_f16 v56, v66, s23, v150
	v_mul_f16_e32 v151, 0x2de8, v35
	v_add_f16_e32 v46, v46, v56
	v_fma_f16 v56, v68, s27, v151
	v_mul_f16_e32 v152, 0x39e9, v42
	v_add_f16_e32 v46, v46, v56
	v_fma_f16 v56, v69, s6, v152
	v_mul_f16_e32 v153, 0xbbdd, v47
	v_add_f16_e32 v46, v46, v56
	v_fma_f16 v56, v70, s14, v153
	v_mul_f16_e32 v154, 0x3722, v48
	v_add_f16_e32 v46, v46, v56
	v_fma_f16 v56, v71, s17, v154
	v_mul_f16_e32 v155, 0xba62, v73
	v_add_f16_e32 v46, v46, v56
	v_fma_f16 v56, v51, s1, v155
	v_mul_f16_e32 v156, 0x3bb2, v75
	v_add_f16_e32 v56, v2, v56
	v_fma_f16 v67, v53, s8, v156
	v_mul_f16_e32 v157, 0xb5c8, v78
	v_add_f16_e32 v56, v56, v67
	v_fma_f16 v67, v55, s10, v157
	v_mul_f16_e32 v158, 0xb836, v79
	v_add_f16_e32 v56, v56, v67
	v_fma_f16 v67, v58, s7, v158
	v_mul_f16_e32 v159, 0x3bf7, v81
	v_add_f16_e32 v56, v56, v67
	v_fma_f16 v67, v60, s0, v159
	v_mul_f16_e32 v160, 0xb964, v83
	v_add_f16_e32 v56, v56, v67
	v_fma_f16 v67, v59, s4, v160
	v_mul_f16_e32 v161, 0xb1e1, v85
	v_add_f16_e32 v56, v56, v67
	v_fma_f16 v67, v61, s5, v161
	v_mul_f16_e32 v162, 0x3b29, v86
	v_add_f16_e32 v56, v56, v67
	v_fma_f16 v67, v62, s9, v162
	v_mul_f16_e32 v163, 0xbacd, v20
	v_add_f16_e32 v56, v56, v67
	v_fma_f16 v67, v63, s23, v163
	v_mul_f16_e32 v164, 0x3722, v22
	v_add_f16_e32 v67, v4, v67
	v_fma_f16 v77, v64, s17, v164
	v_mul_f16_e32 v165, 0x2de8, v25
	v_add_f16_e32 v67, v67, v77
	v_fma_f16 v77, v65, s18, v165
	v_mul_f16_e32 v166, 0xb8d2, v28
	v_add_f16_e32 v67, v67, v77
	v_fma_f16 v77, v66, s25, v166
	v_mul_f16_e32 v167, 0x3b76, v35
	v_add_f16_e32 v67, v67, v77
	v_fma_f16 v77, v68, s21, v167
	v_mul_f16_e32 v168, 0xbbdd, v42
	v_add_f16_e32 v67, v67, v77
	v_fma_f16 v77, v69, s14, v168
	v_mul_f16_e32 v169, 0x39e9, v47
	v_add_f16_e32 v67, v67, v77
	v_fma_f16 v77, v70, s22, v169
	v_mul_f16_e32 v170, 0xb461, v48
	v_add_f16_e32 v67, v67, v77
	v_fma_f16 v77, v71, s26, v170
	v_mul_f16_e32 v171, 0xb836, v73
	v_fma_f16 v72, v63, s22, v72
	v_add_f16_e32 v67, v67, v77
	v_fma_f16 v77, v51, s7, v171
	v_mul_f16_e32 v172, 0x3b29, v75
	v_add_f16_e32 v72, v4, v72
	v_fma_f16 v74, v64, s27, v74
	v_add_f16_e32 v16, v4, v16
	v_add_f16_e32 v77, v2, v77
	v_fma_f16 v90, v53, s9, v172
	v_mul_f16_e32 v173, 0xbbf7, v78
	v_add_f16_e32 v72, v72, v74
	v_fma_f16 v74, v65, s25, v76
	v_add_f16_e32 v16, v16, v17
	;; [unrolled: 6-line block ×7, first 2 shown]
	v_add_f16_e32 v77, v77, v90
	v_fma_f16 v90, v62, s8, v178
	v_mul_f16_e32 v179, 0xbbdd, v20
	v_add_f16_e32 v72, v72, v74
	v_fma_f16 v74, v51, s4, -v89
	v_add_f16_e32 v16, v16, v57
	v_add_f16_e32 v77, v77, v90
	v_fma_f16 v90, v63, s14, v179
	v_mul_f16_e32 v180, 0x3b76, v22
	v_add_f16_e32 v74, v2, v74
	v_fma_f16 v76, v53, s0, -v91
	v_add_f16_e32 v16, v54, v16
	;; [unrolled: 6-line block ×5, first 2 shown]
	v_add_f16_e32 v90, v90, v96
	v_fma_f16 v96, v68, s15, v183
	v_mul_f16_e32 v184, 0x3722, v42
	v_fma_f16 v163, v63, s11, v163
	v_fma_f16 v147, v63, s25, v147
	v_add_f16_e32 v74, v74, v76
	v_fma_f16 v76, v59, s8, -v95
	v_add_f16_e32 v15, v15, v16
	v_add_f16_e32 v90, v90, v96
	v_fma_f16 v96, v69, s17, v184
	v_mul_f16_e32 v185, 0xb461, v47
	v_fma_f16 v179, v63, s20, v179
	v_add_f16_e32 v163, v4, v163
	v_fma_f16 v164, v64, s19, v164
	v_add_f16_e32 v147, v4, v147
	;; [unrolled: 2-line block ×3, first 2 shown]
	v_fma_f16 v76, v61, s9, -v97
	v_add_f16_e32 v14, v14, v15
	v_add_f16_e32 v90, v90, v96
	v_fma_f16 v96, v70, s26, v185
	v_mul_f16_e32 v186, 0x2de8, v48
	v_add_f16_e32 v179, v4, v179
	v_fma_f16 v180, v64, s21, v180
	v_add_f16_e32 v163, v163, v164
	v_fma_f16 v164, v65, s27, v165
	;; [unrolled: 2-line block ×3, first 2 shown]
	v_fma_f16 v131, v63, s24, v131
	v_fma_f16 v115, v63, s27, v115
	;; [unrolled: 1-line block ×3, first 2 shown]
	v_add_f16_e32 v74, v74, v76
	v_fma_f16 v76, v62, s10, -v98
	v_mul_f16_e32 v63, 0xb5c8, v63
	v_add_f16_e32 v13, v13, v14
	v_add_f16_e32 v90, v90, v96
	v_fma_f16 v96, v71, s27, v186
	v_mul_f16_e32 v187, 0xb1e1, v73
	v_add_f16_e32 v179, v179, v180
	v_fma_f16 v180, v65, s11, v181
	v_add_f16_e32 v163, v163, v164
	v_fma_f16 v164, v66, s15, v166
	;; [unrolled: 2-line block ×7, first 2 shown]
	v_mul_f16_e32 v64, 0xb964, v64
	v_add_f16_e32 v11, v11, v13
	v_fma_f16 v13, v20, s10, -v63
	v_add_f16_e32 v90, v90, v96
	v_fma_f16 v96, v51, s5, v187
	v_mul_f16_e32 v188, 0x35c8, v75
	v_add_f16_e32 v179, v179, v180
	v_fma_f16 v180, v66, s6, v182
	v_add_f16_e32 v163, v163, v164
	v_fma_f16 v164, v68, s16, v167
	;; [unrolled: 2-line block ×7, first 2 shown]
	v_mul_f16_e32 v65, 0xbb29, v65
	v_add_f16_e32 v4, v4, v13
	v_fma_f16 v13, v22, s4, -v64
	v_add_f16_e32 v96, v2, v96
	v_fma_f16 v189, v53, s10, v188
	v_add_f16_e32 v179, v179, v180
	v_fma_f16 v180, v68, s25, v183
	;; [unrolled: 2-line block ×8, first 2 shown]
	v_mul_f16_e32 v66, 0xbbf7, v66
	v_add_f16_e32 v4, v4, v13
	v_fma_f16 v13, v25, s9, -v65
	v_add_f16_e32 v96, v96, v189
	v_mul_f16_e32 v189, 0xb836, v78
	v_add_f16_e32 v179, v179, v180
	v_fma_f16 v180, v69, s19, v184
	v_add_f16_e32 v163, v163, v164
	v_fma_f16 v164, v70, s6, v169
	;; [unrolled: 2-line block ×7, first 2 shown]
	v_mul_f16_e32 v68, 0xbbb2, v68
	v_add_f16_e32 v4, v4, v13
	v_fma_f16 v13, v28, s0, -v66
	v_fma_f16 v190, v55, s7, v189
	v_add_f16_e32 v179, v179, v180
	v_fma_f16 v180, v70, s24, v185
	v_add_f16_e32 v163, v163, v164
	;; [unrolled: 2-line block ×7, first 2 shown]
	v_fma_f16 v80, v35, s8, v68
	v_mul_f16_e32 v69, 0xba62, v69
	v_add_f16_e32 v4, v4, v13
	v_fma_f16 v13, v35, s8, -v68
	v_add_f16_e32 v96, v96, v190
	v_mul_f16_e32 v190, 0x3964, v79
	v_add_f16_e32 v179, v179, v180
	v_fma_f16 v180, v71, s18, v186
	v_add_f16_e32 v163, v163, v164
	v_fma_f16 v164, v51, s7, -v171
	v_add_f16_e32 v147, v147, v148
	v_fma_f16 v148, v51, s1, -v155
	v_add_f16_e32 v131, v131, v132
	v_fma_f16 v132, v70, s16, v137
	v_add_f16_e32 v115, v115, v116
	v_fma_f16 v116, v70, s15, v121
	;; [unrolled: 2-line block ×4, first 2 shown]
	v_mul_f16_e32 v70, 0xb836, v70
	v_add_f16_e32 v4, v4, v13
	v_fma_f16 v13, v42, s1, -v69
	v_fma_f16 v191, v58, s4, v190
	v_add_f16_e32 v179, v179, v180
	v_fma_f16 v180, v51, s5, -v187
	v_add_f16_e32 v164, v2, v164
	v_fma_f16 v165, v53, s9, -v172
	;; [unrolled: 2-line block ×3, first 2 shown]
	v_add_f16_e32 v131, v131, v132
	v_fma_f16 v132, v71, s25, v138
	v_add_f16_e32 v115, v115, v116
	v_fma_f16 v116, v71, s6, v122
	;; [unrolled: 2-line block ×4, first 2 shown]
	v_mul_f16_e32 v71, 0xb1e1, v71
	v_add_f16_e32 v4, v4, v13
	v_fma_f16 v13, v47, s7, -v70
	v_add_f16_e32 v96, v96, v191
	v_mul_f16_e32 v191, 0xba62, v81
	v_add_f16_e32 v180, v2, v180
	v_fma_f16 v181, v53, s10, -v188
	v_add_f16_e32 v164, v164, v165
	v_fma_f16 v165, v55, s0, -v173
	;; [unrolled: 2-line block ×3, first 2 shown]
	v_add_f16_e32 v76, v76, v80
	v_fma_f16 v80, v48, s5, v71
	v_mul_f16_e32 v73, 0xb5c8, v73
	v_add_f16_e32 v4, v4, v13
	v_fma_f16 v13, v48, s5, -v71
	v_fma_f16 v192, v60, s1, v191
	v_add_f16_e32 v180, v180, v181
	v_fma_f16 v181, v55, s7, -v189
	v_add_f16_e32 v164, v164, v165
	v_fma_f16 v165, v58, s1, -v174
	;; [unrolled: 2-line block ×7, first 2 shown]
	v_mul_f16_e32 v75, 0xb964, v75
	v_add_f16_e32 v17, v4, v13
	v_fma_f16 v4, v51, s10, v73
	v_add_f16_e32 v96, v96, v192
	v_mul_f16_e32 v192, 0x3b29, v83
	v_add_f16_e32 v180, v180, v181
	v_fma_f16 v181, v58, s4, -v190
	v_add_f16_e32 v164, v164, v165
	v_fma_f16 v165, v60, s10, -v175
	;; [unrolled: 2-line block ×3, first 2 shown]
	v_add_f16_e32 v132, v2, v132
	v_add_f16_e32 v116, v2, v116
	v_fma_f16 v117, v53, s5, -v124
	v_add_f16_e32 v100, v2, v100
	v_add_f16_e32 v80, v2, v80
	v_fma_f16 v82, v53, s4, -v75
	v_mul_f16_e32 v78, 0xbb29, v78
	v_add_f16_e32 v29, v2, v29
	v_add_f16_e32 v2, v2, v4
	v_fma_f16 v4, v53, s4, v75
	v_fma_f16 v193, v59, s9, v192
	v_add_f16_e32 v180, v180, v181
	v_fma_f16 v181, v60, s1, -v191
	v_add_f16_e32 v164, v164, v165
	v_fma_f16 v165, v59, s5, -v176
	;; [unrolled: 2-line block ×3, first 2 shown]
	v_fma_f16 v133, v53, s7, -v140
	v_add_f16_e32 v116, v116, v117
	v_fma_f16 v117, v55, s8, -v125
	v_fma_f16 v101, v53, s1, -v108
	v_add_f16_e32 v80, v80, v82
	v_fma_f16 v82, v55, s9, -v78
	v_mul_f16_e32 v79, 0xbbf7, v79
	v_add_f16_e32 v2, v2, v4
	v_fma_f16 v4, v55, s9, v78
	v_add_f16_e32 v96, v96, v193
	v_mul_f16_e32 v193, 0xbbb2, v85
	v_add_f16_e32 v180, v180, v181
	v_fma_f16 v181, v59, s9, -v192
	v_add_f16_e32 v164, v164, v165
	v_fma_f16 v165, v61, s4, -v177
	v_add_f16_e32 v148, v148, v149
	v_fma_f16 v149, v61, s5, -v161
	v_add_f16_e32 v132, v132, v133
	v_fma_f16 v133, v55, s4, -v141
	v_add_f16_e32 v116, v116, v117
	v_fma_f16 v117, v58, s10, -v126
	v_add_f16_e32 v100, v100, v101
	v_fma_f16 v101, v55, s5, -v109
	v_add_f16_e32 v80, v80, v82
	v_fma_f16 v82, v58, s0, -v79
	v_mul_f16_e32 v81, 0xbbb2, v81
	v_add_f16_e32 v2, v2, v4
	v_fma_f16 v4, v58, s0, v79
	v_fma_f16 v194, v61, s8, v193
	v_add_f16_e32 v180, v180, v181
	v_fma_f16 v181, v61, s8, -v193
	v_add_f16_e32 v164, v164, v165
	v_fma_f16 v165, v62, s8, -v178
	;; [unrolled: 2-line block ×7, first 2 shown]
	v_add_f16_e32 v2, v2, v4
	v_fma_f16 v4, v60, s8, v81
	v_mad_u64_u32 v[13:14], s[8:9], s2, v3, 0
	v_add_f16_e32 v132, v132, v133
	v_fma_f16 v133, v60, s5, -v143
	v_add_f16_e32 v80, v80, v82
	v_mul_f16_e32 v82, 0xba62, v83
	v_add_f16_e32 v132, v132, v133
	v_fma_f16 v133, v59, s0, -v144
	v_add_f16_e32 v100, v100, v101
	v_fma_f16 v101, v60, s4, -v111
	v_fma_f16 v83, v59, s1, -v82
	v_add_f16_e32 v2, v2, v4
	v_fma_f16 v4, v59, s1, v82
	v_add_f16_e32 v96, v96, v194
	v_mul_f16_e32 v194, 0x3bf7, v86
	v_add_f16_e32 v132, v132, v133
	v_fma_f16 v133, v61, s10, -v145
	v_add_f16_e32 v116, v116, v117
	v_fma_f16 v117, v59, s7, -v128
	;; [unrolled: 2-line block ×3, first 2 shown]
	v_add_f16_e32 v80, v80, v83
	v_mul_f16_e32 v83, 0xb836, v85
	v_add_f16_e32 v29, v29, v30
	v_add_f16_e32 v4, v2, v4
	v_mov_b32_e32 v2, v14
	v_fma_f16 v195, v62, s0, v194
	v_add_f16_e32 v180, v180, v181
	v_fma_f16 v181, v62, s0, -v194
	v_add_f16_e32 v132, v132, v133
	v_fma_f16 v133, v62, s1, -v146
	;; [unrolled: 2-line block ×4, first 2 shown]
	v_fma_f16 v84, v61, s7, -v83
	v_add_f16_e32 v29, v29, v31
	v_mad_u64_u32 v[14:15], s[0:1], s3, v3, v[2:3]
	v_add_f16_e32 v80, v80, v84
	v_mul_f16_e32 v84, 0xb1e1, v86
	v_add_f16_e32 v29, v29, v32
	v_fma_f16 v16, v61, s7, v83
	v_add_f16_e32 v29, v29, v36
	v_add_f16_e32 v2, v4, v16
	v_fma_f16 v4, v62, s5, v84
	v_add_f16_e32 v29, v29, v37
	v_add_f16_e32 v18, v2, v4
	v_mov_b32_e32 v2, s13
	v_add_co_u32_e32 v20, vcc, s12, v0
	v_or_b32_e32 v4, 16, v3
	v_add_f16_e32 v29, v29, v39
	v_addc_co_u32_e32 v21, vcc, v2, v1, vcc
	v_lshlrev_b64 v[0:1], 2, v[13:14]
	v_mad_u64_u32 v[13:14], s[0:1], s2, v4, 0
	v_add_f16_e32 v29, v29, v40
	v_add_f16_e32 v29, v43, v29
	;; [unrolled: 1-line block ×4, first 2 shown]
	v_mov_b32_e32 v2, v14
	v_add_f16_e32 v29, v34, v29
	v_mad_u64_u32 v[14:15], s[0:1], s3, v4, v[2:3]
	v_or_b32_e32 v4, 32, v3
	v_add_f16_e32 v27, v27, v29
	v_mad_u64_u32 v[15:16], s[0:1], s2, v4, 0
	v_add_f16_e32 v26, v26, v27
	v_add_f16_e32 v24, v24, v26
	;; [unrolled: 1-line block ×3, first 2 shown]
	v_add_co_u32_e32 v0, vcc, v20, v0
	v_addc_co_u32_e32 v1, vcc, v21, v1, vcc
	v_pack_b32_f16 v11, v23, v11
	v_mov_b32_e32 v2, v16
	global_store_dword v[0:1], v11, off
	v_lshlrev_b64 v[0:1], 2, v[13:14]
	v_mad_u64_u32 v[13:14], s[0:1], s3, v4, v[2:3]
	v_or_b32_e32 v4, 48, v3
	v_fma_f16 v85, v62, s5, -v84
	v_mov_b32_e32 v16, v13
	v_mad_u64_u32 v[13:14], s[0:1], s2, v4, 0
	v_add_f16_e32 v80, v80, v85
	v_add_co_u32_e32 v0, vcc, v20, v0
	v_addc_co_u32_e32 v1, vcc, v21, v1, vcc
	v_pack_b32_f16 v2, v80, v76
	global_store_dword v[0:1], v2, off
	v_mov_b32_e32 v2, v14
	v_lshlrev_b64 v[0:1], 2, v[15:16]
	v_mad_u64_u32 v[14:15], s[0:1], s3, v4, v[2:3]
	v_or_b32_e32 v4, 64, v3
	v_mad_u64_u32 v[15:16], s[0:1], s2, v4, 0
	v_add_co_u32_e32 v0, vcc, v20, v0
	v_addc_co_u32_e32 v1, vcc, v21, v1, vcc
	v_pack_b32_f16 v11, v74, v72
	v_mov_b32_e32 v2, v16
	global_store_dword v[0:1], v11, off
	v_lshlrev_b64 v[0:1], 2, v[13:14]
	v_mad_u64_u32 v[13:14], s[0:1], s3, v4, v[2:3]
	v_or_b32_e32 v4, 0x50, v3
	v_add_f16_e32 v100, v100, v101
	v_mov_b32_e32 v16, v13
	v_mad_u64_u32 v[13:14], s[0:1], s2, v4, 0
	v_fma_f16 v101, v62, s7, -v114
	v_add_f16_e32 v100, v100, v101
	v_add_co_u32_e32 v0, vcc, v20, v0
	v_addc_co_u32_e32 v1, vcc, v21, v1, vcc
	v_pack_b32_f16 v2, v100, v99
	global_store_dword v[0:1], v2, off
	v_mov_b32_e32 v2, v14
	v_lshlrev_b64 v[0:1], 2, v[15:16]
	v_mad_u64_u32 v[14:15], s[0:1], s3, v4, v[2:3]
	v_or_b32_e32 v4, 0x60, v3
	v_mad_u64_u32 v[15:16], s[0:1], s2, v4, 0
	v_add_f16_e32 v116, v116, v117
	v_fma_f16 v117, v62, s4, -v130
	v_add_f16_e32 v116, v116, v117
	v_add_co_u32_e32 v0, vcc, v20, v0
	v_addc_co_u32_e32 v1, vcc, v21, v1, vcc
	v_pack_b32_f16 v11, v116, v115
	v_mov_b32_e32 v2, v16
	global_store_dword v[0:1], v11, off
	v_lshlrev_b64 v[0:1], 2, v[13:14]
	v_mad_u64_u32 v[13:14], s[0:1], s3, v4, v[2:3]
	v_or_b32_e32 v4, 0x70, v3
	v_add_f16_e32 v132, v132, v133
	v_mov_b32_e32 v16, v13
	v_mad_u64_u32 v[13:14], s[0:1], s2, v4, 0
	v_add_co_u32_e32 v0, vcc, v20, v0
	v_addc_co_u32_e32 v1, vcc, v21, v1, vcc
	v_pack_b32_f16 v2, v132, v131
	global_store_dword v[0:1], v2, off
	v_mov_b32_e32 v2, v14
	v_lshlrev_b64 v[0:1], 2, v[15:16]
	v_mad_u64_u32 v[14:15], s[0:1], s3, v4, v[2:3]
	v_or_b32_e32 v4, 0x80, v3
	v_mad_u64_u32 v[15:16], s[0:1], s2, v4, 0
	v_add_f16_e32 v148, v148, v149
	v_add_co_u32_e32 v0, vcc, v20, v0
	v_addc_co_u32_e32 v1, vcc, v21, v1, vcc
	v_pack_b32_f16 v11, v148, v147
	v_mov_b32_e32 v2, v16
	global_store_dword v[0:1], v11, off
	v_lshlrev_b64 v[0:1], 2, v[13:14]
	v_mad_u64_u32 v[13:14], s[0:1], s3, v4, v[2:3]
	v_or_b32_e32 v4, 0x90, v3
	v_add_f16_e32 v164, v164, v165
	v_mov_b32_e32 v16, v13
	v_mad_u64_u32 v[13:14], s[0:1], s2, v4, 0
	v_add_co_u32_e32 v0, vcc, v20, v0
	v_addc_co_u32_e32 v1, vcc, v21, v1, vcc
	v_pack_b32_f16 v2, v164, v163
	global_store_dword v[0:1], v2, off
	v_mov_b32_e32 v2, v14
	v_lshlrev_b64 v[0:1], 2, v[15:16]
	v_mad_u64_u32 v[14:15], s[0:1], s3, v4, v[2:3]
	v_or_b32_e32 v4, 0xa0, v3
	v_mad_u64_u32 v[15:16], s[0:1], s2, v4, 0
	;; [unrolled: 21-line block ×3, first 2 shown]
	v_add_co_u32_e32 v0, vcc, v20, v0
	v_addc_co_u32_e32 v1, vcc, v21, v1, vcc
	v_pack_b32_f16 v11, v77, v67
	v_mov_b32_e32 v2, v16
	global_store_dword v[0:1], v11, off
	v_lshlrev_b64 v[0:1], 2, v[13:14]
	v_mad_u64_u32 v[13:14], s[0:1], s3, v4, v[2:3]
	v_or_b32_e32 v4, 0xd0, v3
	v_add_co_u32_e32 v0, vcc, v20, v0
	v_mov_b32_e32 v16, v13
	v_mad_u64_u32 v[13:14], s[0:1], s2, v4, 0
	v_addc_co_u32_e32 v1, vcc, v21, v1, vcc
	v_pack_b32_f16 v2, v56, v46
	global_store_dword v[0:1], v2, off
	v_mov_b32_e32 v2, v14
	v_pack_b32_f16 v19, v19, v12
	v_mad_u64_u32 v[11:12], s[0:1], s3, v4, v[2:3]
	v_or_b32_e32 v4, 0xe0, v3
	v_lshlrev_b64 v[0:1], 2, v[15:16]
	v_mad_u64_u32 v[15:16], s[0:1], s2, v4, 0
	v_add_co_u32_e32 v0, vcc, v20, v0
	v_mov_b32_e32 v2, v16
	v_addc_co_u32_e32 v1, vcc, v21, v1, vcc
	v_mov_b32_e32 v14, v11
	v_mad_u64_u32 v[11:12], s[0:1], s3, v4, v[2:3]
	v_or_b32_e32 v4, 0xf0, v3
	global_store_dword v[0:1], v19, off
	v_lshlrev_b64 v[0:1], 2, v[13:14]
	v_pack_b32_f16 v2, v10, v9
	v_mad_u64_u32 v[9:10], s[0:1], s2, v4, 0
	v_add_co_u32_e32 v0, vcc, v20, v0
	v_addc_co_u32_e32 v1, vcc, v21, v1, vcc
	global_store_dword v[0:1], v2, off
	v_mov_b32_e32 v2, v10
	v_mov_b32_e32 v16, v11
	v_pack_b32_f16 v11, v8, v7
	v_mad_u64_u32 v[7:8], s[0:1], s3, v4, v[2:3]
	v_or_b32_e32 v4, 0x100, v3
	v_lshlrev_b64 v[0:1], 2, v[15:16]
	v_mad_u64_u32 v[2:3], s[0:1], s2, v4, 0
	v_add_co_u32_e32 v0, vcc, v20, v0
	v_addc_co_u32_e32 v1, vcc, v21, v1, vcc
	v_mov_b32_e32 v10, v7
	global_store_dword v[0:1], v11, off
	v_lshlrev_b64 v[0:1], 2, v[9:10]
	v_mad_u64_u32 v[3:4], s[0:1], s3, v4, v[3:4]
	v_add_co_u32_e32 v0, vcc, v20, v0
	v_addc_co_u32_e32 v1, vcc, v21, v1, vcc
	v_pack_b32_f16 v4, v6, v5
	global_store_dword v[0:1], v4, off
	v_lshlrev_b64 v[0:1], 2, v[2:3]
	v_pack_b32_f16 v2, v18, v17
	v_add_co_u32_e32 v0, vcc, v20, v0
	v_addc_co_u32_e32 v1, vcc, v21, v1, vcc
	global_store_dword v[0:1], v2, off
	s_endpgm
	.section	.rodata,"a",@progbits
	.p2align	6, 0x0
	.amdhsa_kernel fft_rtc_fwd_len272_factors_16_17_wgs_119_tpt_17_halfLds_half_ip_CI_sbrr_dirReg
		.amdhsa_group_segment_fixed_size 0
		.amdhsa_private_segment_fixed_size 0
		.amdhsa_kernarg_size 88
		.amdhsa_user_sgpr_count 6
		.amdhsa_user_sgpr_private_segment_buffer 1
		.amdhsa_user_sgpr_dispatch_ptr 0
		.amdhsa_user_sgpr_queue_ptr 0
		.amdhsa_user_sgpr_kernarg_segment_ptr 1
		.amdhsa_user_sgpr_dispatch_id 0
		.amdhsa_user_sgpr_flat_scratch_init 0
		.amdhsa_user_sgpr_private_segment_size 0
		.amdhsa_uses_dynamic_stack 0
		.amdhsa_system_sgpr_private_segment_wavefront_offset 0
		.amdhsa_system_sgpr_workgroup_id_x 1
		.amdhsa_system_sgpr_workgroup_id_y 0
		.amdhsa_system_sgpr_workgroup_id_z 0
		.amdhsa_system_sgpr_workgroup_info 0
		.amdhsa_system_vgpr_workitem_id 0
		.amdhsa_next_free_vgpr 196
		.amdhsa_next_free_sgpr 28
		.amdhsa_reserve_vcc 1
		.amdhsa_reserve_flat_scratch 0
		.amdhsa_float_round_mode_32 0
		.amdhsa_float_round_mode_16_64 0
		.amdhsa_float_denorm_mode_32 3
		.amdhsa_float_denorm_mode_16_64 3
		.amdhsa_dx10_clamp 1
		.amdhsa_ieee_mode 1
		.amdhsa_fp16_overflow 0
		.amdhsa_exception_fp_ieee_invalid_op 0
		.amdhsa_exception_fp_denorm_src 0
		.amdhsa_exception_fp_ieee_div_zero 0
		.amdhsa_exception_fp_ieee_overflow 0
		.amdhsa_exception_fp_ieee_underflow 0
		.amdhsa_exception_fp_ieee_inexact 0
		.amdhsa_exception_int_div_zero 0
	.end_amdhsa_kernel
	.text
.Lfunc_end0:
	.size	fft_rtc_fwd_len272_factors_16_17_wgs_119_tpt_17_halfLds_half_ip_CI_sbrr_dirReg, .Lfunc_end0-fft_rtc_fwd_len272_factors_16_17_wgs_119_tpt_17_halfLds_half_ip_CI_sbrr_dirReg
                                        ; -- End function
	.section	.AMDGPU.csdata,"",@progbits
; Kernel info:
; codeLenInByte = 10100
; NumSgprs: 32
; NumVgprs: 196
; ScratchSize: 0
; MemoryBound: 0
; FloatMode: 240
; IeeeMode: 1
; LDSByteSize: 0 bytes/workgroup (compile time only)
; SGPRBlocks: 3
; VGPRBlocks: 48
; NumSGPRsForWavesPerEU: 32
; NumVGPRsForWavesPerEU: 196
; Occupancy: 1
; WaveLimiterHint : 1
; COMPUTE_PGM_RSRC2:SCRATCH_EN: 0
; COMPUTE_PGM_RSRC2:USER_SGPR: 6
; COMPUTE_PGM_RSRC2:TRAP_HANDLER: 0
; COMPUTE_PGM_RSRC2:TGID_X_EN: 1
; COMPUTE_PGM_RSRC2:TGID_Y_EN: 0
; COMPUTE_PGM_RSRC2:TGID_Z_EN: 0
; COMPUTE_PGM_RSRC2:TIDIG_COMP_CNT: 0
	.type	__hip_cuid_802e91b5427589b9,@object ; @__hip_cuid_802e91b5427589b9
	.section	.bss,"aw",@nobits
	.globl	__hip_cuid_802e91b5427589b9
__hip_cuid_802e91b5427589b9:
	.byte	0                               ; 0x0
	.size	__hip_cuid_802e91b5427589b9, 1

	.ident	"AMD clang version 19.0.0git (https://github.com/RadeonOpenCompute/llvm-project roc-6.4.0 25133 c7fe45cf4b819c5991fe208aaa96edf142730f1d)"
	.section	".note.GNU-stack","",@progbits
	.addrsig
	.addrsig_sym __hip_cuid_802e91b5427589b9
	.amdgpu_metadata
---
amdhsa.kernels:
  - .args:
      - .actual_access:  read_only
        .address_space:  global
        .offset:         0
        .size:           8
        .value_kind:     global_buffer
      - .offset:         8
        .size:           8
        .value_kind:     by_value
      - .actual_access:  read_only
        .address_space:  global
        .offset:         16
        .size:           8
        .value_kind:     global_buffer
      - .actual_access:  read_only
        .address_space:  global
        .offset:         24
        .size:           8
        .value_kind:     global_buffer
      - .offset:         32
        .size:           8
        .value_kind:     by_value
      - .actual_access:  read_only
        .address_space:  global
        .offset:         40
        .size:           8
        .value_kind:     global_buffer
      - .actual_access:  read_only
        .address_space:  global
        .offset:         48
        .size:           8
        .value_kind:     global_buffer
      - .offset:         56
        .size:           4
        .value_kind:     by_value
      - .actual_access:  read_only
        .address_space:  global
        .offset:         64
        .size:           8
        .value_kind:     global_buffer
      - .actual_access:  read_only
        .address_space:  global
        .offset:         72
        .size:           8
        .value_kind:     global_buffer
      - .address_space:  global
        .offset:         80
        .size:           8
        .value_kind:     global_buffer
    .group_segment_fixed_size: 0
    .kernarg_segment_align: 8
    .kernarg_segment_size: 88
    .language:       OpenCL C
    .language_version:
      - 2
      - 0
    .max_flat_workgroup_size: 119
    .name:           fft_rtc_fwd_len272_factors_16_17_wgs_119_tpt_17_halfLds_half_ip_CI_sbrr_dirReg
    .private_segment_fixed_size: 0
    .sgpr_count:     32
    .sgpr_spill_count: 0
    .symbol:         fft_rtc_fwd_len272_factors_16_17_wgs_119_tpt_17_halfLds_half_ip_CI_sbrr_dirReg.kd
    .uniform_work_group_size: 1
    .uses_dynamic_stack: false
    .vgpr_count:     196
    .vgpr_spill_count: 0
    .wavefront_size: 64
amdhsa.target:   amdgcn-amd-amdhsa--gfx906
amdhsa.version:
  - 1
  - 2
...

	.end_amdgpu_metadata
